;; amdgpu-corpus repo=ROCm/rocFFT kind=compiled arch=gfx906 opt=O3
	.text
	.amdgcn_target "amdgcn-amd-amdhsa--gfx906"
	.amdhsa_code_object_version 6
	.protected	fft_rtc_fwd_len624_factors_13_4_6_2_wgs_52_tpt_52_half_ip_CI_unitstride_sbrr_R2C_dirReg ; -- Begin function fft_rtc_fwd_len624_factors_13_4_6_2_wgs_52_tpt_52_half_ip_CI_unitstride_sbrr_R2C_dirReg
	.globl	fft_rtc_fwd_len624_factors_13_4_6_2_wgs_52_tpt_52_half_ip_CI_unitstride_sbrr_R2C_dirReg
	.p2align	8
	.type	fft_rtc_fwd_len624_factors_13_4_6_2_wgs_52_tpt_52_half_ip_CI_unitstride_sbrr_R2C_dirReg,@function
fft_rtc_fwd_len624_factors_13_4_6_2_wgs_52_tpt_52_half_ip_CI_unitstride_sbrr_R2C_dirReg: ; @fft_rtc_fwd_len624_factors_13_4_6_2_wgs_52_tpt_52_half_ip_CI_unitstride_sbrr_R2C_dirReg
; %bb.0:
	s_load_dwordx2 s[2:3], s[4:5], 0x50
	s_load_dwordx4 s[8:11], s[4:5], 0x0
	s_load_dwordx2 s[12:13], s[4:5], 0x18
	v_mul_u32_u24_e32 v1, 0x4ed, v0
	v_add_u32_sdwa v5, s6, v1 dst_sel:DWORD dst_unused:UNUSED_PAD src0_sel:DWORD src1_sel:WORD_1
	v_mov_b32_e32 v3, 0
	s_waitcnt lgkmcnt(0)
	v_cmp_lt_u64_e64 s[0:1], s[10:11], 2
	v_mov_b32_e32 v1, 0
	v_mov_b32_e32 v6, v3
	s_and_b64 vcc, exec, s[0:1]
	v_mov_b32_e32 v2, 0
	s_cbranch_vccnz .LBB0_8
; %bb.1:
	s_load_dwordx2 s[0:1], s[4:5], 0x10
	s_add_u32 s6, s12, 8
	s_addc_u32 s7, s13, 0
	v_mov_b32_e32 v1, 0
	v_mov_b32_e32 v2, 0
	s_waitcnt lgkmcnt(0)
	s_add_u32 s14, s0, 8
	s_addc_u32 s15, s1, 0
	s_mov_b64 s[16:17], 1
.LBB0_2:                                ; =>This Inner Loop Header: Depth=1
	s_load_dwordx2 s[18:19], s[14:15], 0x0
                                        ; implicit-def: $vgpr7_vgpr8
	s_waitcnt lgkmcnt(0)
	v_or_b32_e32 v4, s19, v6
	v_cmp_ne_u64_e32 vcc, 0, v[3:4]
	s_and_saveexec_b64 s[0:1], vcc
	s_xor_b64 s[20:21], exec, s[0:1]
	s_cbranch_execz .LBB0_4
; %bb.3:                                ;   in Loop: Header=BB0_2 Depth=1
	v_cvt_f32_u32_e32 v4, s18
	v_cvt_f32_u32_e32 v7, s19
	s_sub_u32 s0, 0, s18
	s_subb_u32 s1, 0, s19
	v_mac_f32_e32 v4, 0x4f800000, v7
	v_rcp_f32_e32 v4, v4
	v_mul_f32_e32 v4, 0x5f7ffffc, v4
	v_mul_f32_e32 v7, 0x2f800000, v4
	v_trunc_f32_e32 v7, v7
	v_mac_f32_e32 v4, 0xcf800000, v7
	v_cvt_u32_f32_e32 v7, v7
	v_cvt_u32_f32_e32 v4, v4
	v_mul_lo_u32 v8, s0, v7
	v_mul_hi_u32 v9, s0, v4
	v_mul_lo_u32 v11, s1, v4
	v_mul_lo_u32 v10, s0, v4
	v_add_u32_e32 v8, v9, v8
	v_add_u32_e32 v8, v8, v11
	v_mul_hi_u32 v9, v4, v10
	v_mul_lo_u32 v11, v4, v8
	v_mul_hi_u32 v13, v4, v8
	v_mul_hi_u32 v12, v7, v10
	v_mul_lo_u32 v10, v7, v10
	v_mul_hi_u32 v14, v7, v8
	v_add_co_u32_e32 v9, vcc, v9, v11
	v_addc_co_u32_e32 v11, vcc, 0, v13, vcc
	v_mul_lo_u32 v8, v7, v8
	v_add_co_u32_e32 v9, vcc, v9, v10
	v_addc_co_u32_e32 v9, vcc, v11, v12, vcc
	v_addc_co_u32_e32 v10, vcc, 0, v14, vcc
	v_add_co_u32_e32 v8, vcc, v9, v8
	v_addc_co_u32_e32 v9, vcc, 0, v10, vcc
	v_add_co_u32_e32 v4, vcc, v4, v8
	v_addc_co_u32_e32 v7, vcc, v7, v9, vcc
	v_mul_lo_u32 v8, s0, v7
	v_mul_hi_u32 v9, s0, v4
	v_mul_lo_u32 v10, s1, v4
	v_mul_lo_u32 v11, s0, v4
	v_add_u32_e32 v8, v9, v8
	v_add_u32_e32 v8, v8, v10
	v_mul_lo_u32 v12, v4, v8
	v_mul_hi_u32 v13, v4, v11
	v_mul_hi_u32 v14, v4, v8
	;; [unrolled: 1-line block ×3, first 2 shown]
	v_mul_lo_u32 v11, v7, v11
	v_mul_hi_u32 v9, v7, v8
	v_add_co_u32_e32 v12, vcc, v13, v12
	v_addc_co_u32_e32 v13, vcc, 0, v14, vcc
	v_mul_lo_u32 v8, v7, v8
	v_add_co_u32_e32 v11, vcc, v12, v11
	v_addc_co_u32_e32 v10, vcc, v13, v10, vcc
	v_addc_co_u32_e32 v9, vcc, 0, v9, vcc
	v_add_co_u32_e32 v8, vcc, v10, v8
	v_addc_co_u32_e32 v9, vcc, 0, v9, vcc
	v_add_co_u32_e32 v4, vcc, v4, v8
	v_addc_co_u32_e32 v9, vcc, v7, v9, vcc
	v_mad_u64_u32 v[7:8], s[0:1], v5, v9, 0
	v_mul_hi_u32 v10, v5, v4
	v_add_co_u32_e32 v11, vcc, v10, v7
	v_addc_co_u32_e32 v12, vcc, 0, v8, vcc
	v_mad_u64_u32 v[7:8], s[0:1], v6, v4, 0
	v_mad_u64_u32 v[9:10], s[0:1], v6, v9, 0
	v_add_co_u32_e32 v4, vcc, v11, v7
	v_addc_co_u32_e32 v4, vcc, v12, v8, vcc
	v_addc_co_u32_e32 v7, vcc, 0, v10, vcc
	v_add_co_u32_e32 v4, vcc, v4, v9
	v_addc_co_u32_e32 v9, vcc, 0, v7, vcc
	v_mul_lo_u32 v10, s19, v4
	v_mul_lo_u32 v11, s18, v9
	v_mad_u64_u32 v[7:8], s[0:1], s18, v4, 0
	v_add3_u32 v8, v8, v11, v10
	v_sub_u32_e32 v10, v6, v8
	v_mov_b32_e32 v11, s19
	v_sub_co_u32_e32 v7, vcc, v5, v7
	v_subb_co_u32_e64 v10, s[0:1], v10, v11, vcc
	v_subrev_co_u32_e64 v11, s[0:1], s18, v7
	v_subbrev_co_u32_e64 v10, s[0:1], 0, v10, s[0:1]
	v_cmp_le_u32_e64 s[0:1], s19, v10
	v_cndmask_b32_e64 v12, 0, -1, s[0:1]
	v_cmp_le_u32_e64 s[0:1], s18, v11
	v_cndmask_b32_e64 v11, 0, -1, s[0:1]
	v_cmp_eq_u32_e64 s[0:1], s19, v10
	v_cndmask_b32_e64 v10, v12, v11, s[0:1]
	v_add_co_u32_e64 v11, s[0:1], 2, v4
	v_addc_co_u32_e64 v12, s[0:1], 0, v9, s[0:1]
	v_add_co_u32_e64 v13, s[0:1], 1, v4
	v_addc_co_u32_e64 v14, s[0:1], 0, v9, s[0:1]
	v_subb_co_u32_e32 v8, vcc, v6, v8, vcc
	v_cmp_ne_u32_e64 s[0:1], 0, v10
	v_cmp_le_u32_e32 vcc, s19, v8
	v_cndmask_b32_e64 v10, v14, v12, s[0:1]
	v_cndmask_b32_e64 v12, 0, -1, vcc
	v_cmp_le_u32_e32 vcc, s18, v7
	v_cndmask_b32_e64 v7, 0, -1, vcc
	v_cmp_eq_u32_e32 vcc, s19, v8
	v_cndmask_b32_e32 v7, v12, v7, vcc
	v_cmp_ne_u32_e32 vcc, 0, v7
	v_cndmask_b32_e64 v7, v13, v11, s[0:1]
	v_cndmask_b32_e32 v8, v9, v10, vcc
	v_cndmask_b32_e32 v7, v4, v7, vcc
.LBB0_4:                                ;   in Loop: Header=BB0_2 Depth=1
	s_andn2_saveexec_b64 s[0:1], s[20:21]
	s_cbranch_execz .LBB0_6
; %bb.5:                                ;   in Loop: Header=BB0_2 Depth=1
	v_cvt_f32_u32_e32 v4, s18
	s_sub_i32 s20, 0, s18
	v_rcp_iflag_f32_e32 v4, v4
	v_mul_f32_e32 v4, 0x4f7ffffe, v4
	v_cvt_u32_f32_e32 v4, v4
	v_mul_lo_u32 v7, s20, v4
	v_mul_hi_u32 v7, v4, v7
	v_add_u32_e32 v4, v4, v7
	v_mul_hi_u32 v4, v5, v4
	v_mul_lo_u32 v7, v4, s18
	v_add_u32_e32 v8, 1, v4
	v_sub_u32_e32 v7, v5, v7
	v_subrev_u32_e32 v9, s18, v7
	v_cmp_le_u32_e32 vcc, s18, v7
	v_cndmask_b32_e32 v7, v7, v9, vcc
	v_cndmask_b32_e32 v4, v4, v8, vcc
	v_add_u32_e32 v8, 1, v4
	v_cmp_le_u32_e32 vcc, s18, v7
	v_cndmask_b32_e32 v7, v4, v8, vcc
	v_mov_b32_e32 v8, v3
.LBB0_6:                                ;   in Loop: Header=BB0_2 Depth=1
	s_or_b64 exec, exec, s[0:1]
	v_mul_lo_u32 v4, v8, s18
	v_mul_lo_u32 v11, v7, s19
	v_mad_u64_u32 v[9:10], s[0:1], v7, s18, 0
	s_load_dwordx2 s[0:1], s[6:7], 0x0
	s_add_u32 s16, s16, 1
	v_add3_u32 v4, v10, v11, v4
	v_sub_co_u32_e32 v5, vcc, v5, v9
	v_subb_co_u32_e32 v4, vcc, v6, v4, vcc
	s_waitcnt lgkmcnt(0)
	v_mul_lo_u32 v4, s0, v4
	v_mul_lo_u32 v6, s1, v5
	v_mad_u64_u32 v[1:2], s[0:1], s0, v5, v[1:2]
	s_addc_u32 s17, s17, 0
	s_add_u32 s6, s6, 8
	v_add3_u32 v2, v6, v2, v4
	v_mov_b32_e32 v4, s10
	v_mov_b32_e32 v5, s11
	s_addc_u32 s7, s7, 0
	v_cmp_ge_u64_e32 vcc, s[16:17], v[4:5]
	s_add_u32 s14, s14, 8
	s_addc_u32 s15, s15, 0
	s_cbranch_vccnz .LBB0_9
; %bb.7:                                ;   in Loop: Header=BB0_2 Depth=1
	v_mov_b32_e32 v5, v7
	v_mov_b32_e32 v6, v8
	s_branch .LBB0_2
.LBB0_8:
	v_mov_b32_e32 v8, v6
	v_mov_b32_e32 v7, v5
.LBB0_9:
	s_lshl_b64 s[0:1], s[10:11], 3
	s_add_u32 s0, s12, s0
	s_addc_u32 s1, s13, s1
	s_load_dwordx2 s[6:7], s[0:1], 0x0
	s_load_dwordx2 s[10:11], s[4:5], 0x20
	s_waitcnt lgkmcnt(0)
	v_mad_u64_u32 v[1:2], s[0:1], s6, v7, v[1:2]
	s_mov_b32 s0, 0x4ec4ec5
	v_mul_lo_u32 v3, s6, v8
	v_mul_lo_u32 v4, s7, v7
	v_mul_hi_u32 v5, v0, s0
	v_cmp_gt_u64_e32 vcc, s[10:11], v[7:8]
	v_add3_u32 v2, v4, v2, v3
	v_mul_u32_u24_e32 v3, 52, v5
	v_sub_u32_e32 v0, v0, v3
	v_lshlrev_b64 v[2:3], 2, v[1:2]
	v_lshl_add_u32 v16, v0, 2, 0
	s_and_saveexec_b64 s[4:5], vcc
	s_cbranch_execz .LBB0_11
; %bb.10:
	v_mov_b32_e32 v1, 0
	v_mov_b32_e32 v4, s3
	v_add_co_u32_e64 v6, s[0:1], s2, v2
	v_addc_co_u32_e64 v7, s[0:1], v4, v3, s[0:1]
	v_lshlrev_b64 v[4:5], 2, v[0:1]
	v_add_u32_e32 v18, 0x800, v16
	v_add_co_u32_e64 v4, s[0:1], v6, v4
	v_addc_co_u32_e64 v5, s[0:1], v7, v5, s[0:1]
	global_load_dword v1, v[4:5], off
	global_load_dword v6, v[4:5], off offset:208
	global_load_dword v7, v[4:5], off offset:416
	;; [unrolled: 1-line block ×11, first 2 shown]
	v_add_u32_e32 v4, 0x200, v16
	v_add_u32_e32 v5, 0x400, v16
	s_waitcnt vmcnt(10)
	ds_write2_b32 v16, v1, v6 offset1:52
	s_waitcnt vmcnt(8)
	ds_write2_b32 v16, v7, v8 offset0:104 offset1:156
	s_waitcnt vmcnt(6)
	ds_write2_b32 v4, v9, v10 offset0:80 offset1:132
	s_waitcnt vmcnt(4)
	ds_write2_b32 v5, v11, v12 offset0:56 offset1:108
	s_waitcnt vmcnt(2)
	ds_write2_b32 v5, v13, v14 offset0:160 offset1:212
	s_waitcnt vmcnt(0)
	ds_write2_b32 v18, v15, v17 offset0:8 offset1:60
.LBB0_11:
	s_or_b64 exec, exec, s[4:5]
	s_waitcnt lgkmcnt(0)
	; wave barrier
	s_waitcnt lgkmcnt(0)
	ds_read2_b32 v[4:5], v16 offset1:48
	ds_read2_b32 v[12:13], v16 offset0:96 offset1:144
	ds_read2_b32 v[8:9], v16 offset0:192 offset1:240
	v_add_u32_e32 v17, 0x400, v16
	v_add_u32_e32 v1, 0x600, v16
	ds_read2_b32 v[6:7], v17 offset0:32 offset1:80
	ds_read2_b32 v[10:11], v17 offset0:128 offset1:176
	;; [unrolled: 1-line block ×3, first 2 shown]
	ds_read_b32 v18, v16 offset:2304
	v_cmp_gt_u32_e64 s[0:1], 48, v0
	s_waitcnt lgkmcnt(0)
	; wave barrier
	s_waitcnt lgkmcnt(0)
	s_and_saveexec_b64 s[4:5], s[0:1]
	s_cbranch_execz .LBB0_13
; %bb.12:
	v_pk_add_f16 v1, v4, v5
	v_pk_add_f16 v1, v1, v12
	;; [unrolled: 1-line block ×11, first 2 shown]
	s_movk_i32 s0, 0x388b
	v_pk_add_f16 v19, v1, v15
	v_pk_add_f16 v1, v15, v12
	v_mul_f16_sdwa v21, v20, s0 dst_sel:DWORD dst_unused:UNUSED_PAD src0_sel:WORD_1 src1_sel:DWORD
	v_pk_add_f16 v5, v5, v18 neg_lo:[0,1] neg_hi:[0,1]
	s_mov_b32 s1, 0xb5ac
	s_mov_b32 s7, 0xba95
	v_pk_add_f16 v15, v12, v15 neg_lo:[0,1] neg_hi:[0,1]
	v_pk_add_f16 v12, v14, v13
	v_pk_add_f16 v14, v13, v14 neg_lo:[0,1] neg_hi:[0,1]
	v_pk_add_f16 v13, v11, v8
	;; [unrolled: 2-line block ×4, first 2 shown]
	v_pk_add_f16 v6, v6, v7 neg_lo:[0,1] neg_hi:[0,1]
	s_mov_b32 s6, 0xbb7b
	v_fma_f16 v7, v5, s7, v21
	v_mul_f16_sdwa v22, v1, s1 dst_sel:DWORD dst_unused:UNUSED_PAD src0_sel:WORD_1 src1_sel:DWORD
	v_add_f16_sdwa v7, v4, v7 dst_sel:DWORD dst_unused:UNUSED_PAD src0_sel:WORD_1 src1_sel:DWORD
	v_fma_f16 v23, v15, s6, v22
	s_mov_b32 s10, 0xbbc4
	v_add_f16_e32 v7, v23, v7
	s_mov_b32 s14, 0xb3a8
	v_mul_f16_sdwa v23, v12, s10 dst_sel:DWORD dst_unused:UNUSED_PAD src0_sel:WORD_1 src1_sel:DWORD
	v_fma_f16 v24, v14, s14, v23
	s_mov_b32 s11, 0xb9fd
	v_add_f16_e32 v7, v24, v7
	s_movk_i32 s23, 0x394e
	v_mul_f16_sdwa v24, v13, s11 dst_sel:DWORD dst_unused:UNUSED_PAD src0_sel:WORD_1 src1_sel:DWORD
	v_fma_f16 v25, v11, s23, v24
	s_movk_i32 s13, 0x2fb7
	v_add_f16_e32 v7, v25, v7
	s_movk_i32 s17, 0x3bf1
	v_mul_f16_sdwa v25, v8, s13 dst_sel:DWORD dst_unused:UNUSED_PAD src0_sel:WORD_1 src1_sel:DWORD
	v_fma_f16 v26, v10, s17, v25
	s_movk_i32 s15, 0x3b15
	v_add_f16_e32 v7, v26, v7
	s_movk_i32 s20, 0x3770
	v_mul_f16_sdwa v26, v9, s15 dst_sel:DWORD dst_unused:UNUSED_PAD src0_sel:WORD_1 src1_sel:DWORD
	v_fma_f16 v27, v6, s20, v26
	s_mov_b32 s16, 0x3b15388b
	v_add_f16_e32 v7, v27, v7
	s_mov_b32 s12, 0xba95b770
	s_mov_b32 s19, 0x388bb5ac
	v_pk_mul_f16 v27, v20, s16
	s_mov_b32 s18, 0xbb7bba95
	v_pk_fma_f16 v28, v5, s12, v27 op_sel:[0,0,1] op_sel_hi:[1,1,0]
	v_pk_fma_f16 v27, v5, s12, v27 op_sel:[0,0,1] op_sel_hi:[1,1,0] neg_lo:[1,0,0] neg_hi:[1,0,0]
	s_mov_b32 s12, 0xffff
	v_pk_mul_f16 v30, v1, s19
	v_bfi_b32 v29, s12, v28, v27
	v_pk_fma_f16 v31, v15, s18, v30 op_sel:[0,0,1] op_sel_hi:[1,1,0]
	v_pk_fma_f16 v30, v15, s18, v30 op_sel:[0,0,1] op_sel_hi:[1,1,0] neg_lo:[1,0,0] neg_hi:[1,0,0]
	v_pk_add_f16 v29, v4, v29 op_sel:[1,0] op_sel_hi:[0,1]
	v_bfi_b32 v32, s12, v31, v30
	s_mov_b32 s18, 0x2fb7bbc4
	v_pk_add_f16 v29, v32, v29
	s_mov_b32 s16, 0xb3a8bbf1
	v_pk_mul_f16 v32, v12, s18
	v_pk_fma_f16 v33, v14, s16, v32 op_sel:[0,0,1] op_sel_hi:[1,1,0]
	v_pk_fma_f16 v32, v14, s16, v32 op_sel:[0,0,1] op_sel_hi:[1,1,0] neg_lo:[1,0,0] neg_hi:[1,0,0]
	v_bfi_b32 v34, s12, v33, v32
	s_mov_b32 s18, 0xb5acb9fd
	v_pk_add_f16 v29, v34, v29
	s_mov_b32 s16, 0x394ebb7b
	v_pk_mul_f16 v34, v13, s18
	v_pk_fma_f16 v35, v11, s16, v34 op_sel:[0,0,1] op_sel_hi:[1,1,0]
	v_pk_fma_f16 v34, v11, s16, v34 op_sel:[0,0,1] op_sel_hi:[1,1,0] neg_lo:[1,0,0] neg_hi:[1,0,0]
	;; [unrolled: 7-line block ×4, first 2 shown]
	v_bfi_b32 v39, s12, v39, v40
	s_mov_b32 s18, 0xb770
	v_pk_add_f16 v29, v39, v29
	v_mul_f16_sdwa v39, v5, s18 dst_sel:DWORD dst_unused:UNUSED_PAD src0_sel:WORD_1 src1_sel:DWORD
	v_fma_f16 v41, v20, s15, -v39
	v_mul_f16_sdwa v42, v15, s7 dst_sel:DWORD dst_unused:UNUSED_PAD src0_sel:WORD_1 src1_sel:DWORD
	v_add_f16_e32 v41, v4, v41
	v_fma_f16 v43, v1, s0, -v42
	s_mov_b32 s19, 0xbbf1
	v_add_f16_e32 v41, v43, v41
	v_mul_f16_sdwa v43, v14, s19 dst_sel:DWORD dst_unused:UNUSED_PAD src0_sel:WORD_1 src1_sel:DWORD
	v_fma_f16 v44, v12, s13, -v43
	v_add_f16_e32 v41, v44, v41
	v_mul_f16_sdwa v44, v11, s6 dst_sel:DWORD dst_unused:UNUSED_PAD src0_sel:WORD_1 src1_sel:DWORD
	v_fma_f16 v45, v13, s1, -v44
	s_mov_b32 s21, 0xb94e
	v_add_f16_e32 v41, v45, v41
	v_mul_f16_sdwa v45, v10, s21 dst_sel:DWORD dst_unused:UNUSED_PAD src0_sel:WORD_1 src1_sel:DWORD
	v_fma_f16 v46, v8, s11, -v45
	v_add_f16_e32 v41, v46, v41
	v_mul_f16_sdwa v46, v6, s14 dst_sel:DWORD dst_unused:UNUSED_PAD src0_sel:WORD_1 src1_sel:DWORD
	v_fma_f16 v47, v9, s10, -v46
	v_add_f16_e32 v41, v47, v41
	v_alignbit_b32 v7, v7, v29, 16
	v_pack_b32_f16 v29, v41, v29
	v_mad_u32_u24 v41, v0, 48, v16
	ds_write2_b32 v41, v29, v7 offset0:1 offset1:2
	v_mul_f16_sdwa v7, v20, s1 dst_sel:DWORD dst_unused:UNUSED_PAD src0_sel:WORD_1 src1_sel:DWORD
	v_fma_f16 v29, v5, s6, v7
	v_mul_f16_sdwa v47, v1, s11 dst_sel:DWORD dst_unused:UNUSED_PAD src0_sel:WORD_1 src1_sel:DWORD
	v_add_f16_sdwa v29, v4, v29 dst_sel:DWORD dst_unused:UNUSED_PAD src0_sel:WORD_1 src1_sel:DWORD
	v_fma_f16 v48, v15, s23, v47
	v_add_f16_e32 v29, v48, v29
	v_mul_f16_sdwa v48, v12, s15 dst_sel:DWORD dst_unused:UNUSED_PAD src0_sel:WORD_1 src1_sel:DWORD
	v_fma_f16 v49, v14, s20, v48
	v_add_f16_e32 v29, v49, v29
	v_mul_f16_sdwa v49, v13, s13 dst_sel:DWORD dst_unused:UNUSED_PAD src0_sel:WORD_1 src1_sel:DWORD
	v_fma_f16 v50, v11, s19, v49
	v_add_f16_e32 v29, v50, v29
	s_movk_i32 s25, 0x33a8
	v_mul_f16_sdwa v50, v8, s10 dst_sel:DWORD dst_unused:UNUSED_PAD src0_sel:WORD_1 src1_sel:DWORD
	v_fma_f16 v51, v10, s25, v50
	v_add_f16_e32 v29, v51, v29
	s_movk_i32 s22, 0x3a95
	v_mul_f16_sdwa v51, v9, s0 dst_sel:DWORD dst_unused:UNUSED_PAD src0_sel:WORD_1 src1_sel:DWORD
	v_fma_f16 v52, v6, s22, v51
	v_add_f16_e32 v29, v52, v29
	v_mul_f16_sdwa v52, v5, s6 dst_sel:DWORD dst_unused:UNUSED_PAD src0_sel:WORD_1 src1_sel:DWORD
	v_fma_f16 v53, v20, s1, -v52
	v_mul_f16_sdwa v54, v15, s23 dst_sel:DWORD dst_unused:UNUSED_PAD src0_sel:WORD_1 src1_sel:DWORD
	v_add_f16_e32 v53, v4, v53
	v_fma_f16 v55, v1, s11, -v54
	v_add_f16_e32 v53, v55, v53
	v_mul_f16_sdwa v55, v14, s20 dst_sel:DWORD dst_unused:UNUSED_PAD src0_sel:WORD_1 src1_sel:DWORD
	v_fma_f16 v56, v12, s15, -v55
	v_add_f16_e32 v53, v56, v53
	v_mul_f16_sdwa v56, v11, s19 dst_sel:DWORD dst_unused:UNUSED_PAD src0_sel:WORD_1 src1_sel:DWORD
	;; [unrolled: 3-line block ×5, first 2 shown]
	v_fma_f16 v60, v5, s19, v59
	v_mul_f16_sdwa v61, v1, s10 dst_sel:DWORD dst_unused:UNUSED_PAD src0_sel:WORD_1 src1_sel:DWORD
	v_add_f16_sdwa v60, v4, v60 dst_sel:DWORD dst_unused:UNUSED_PAD src0_sel:WORD_1 src1_sel:DWORD
	v_fma_f16 v62, v15, s14, v61
	v_add_f16_e32 v60, v62, v60
	s_movk_i32 s24, 0x3b7b
	v_mul_f16_sdwa v62, v12, s1 dst_sel:DWORD dst_unused:UNUSED_PAD src0_sel:WORD_1 src1_sel:DWORD
	v_fma_f16 v63, v14, s24, v62
	v_add_f16_e32 v60, v63, v60
	v_mul_f16_sdwa v63, v13, s15 dst_sel:DWORD dst_unused:UNUSED_PAD src0_sel:WORD_1 src1_sel:DWORD
	v_fma_f16 v64, v11, s20, v63
	v_add_f16_e32 v60, v64, v60
	;; [unrolled: 3-line block ×4, first 2 shown]
	v_mul_f16_sdwa v66, v5, s19 dst_sel:DWORD dst_unused:UNUSED_PAD src0_sel:WORD_1 src1_sel:DWORD
	v_fma_f16 v67, v20, s13, -v66
	v_mul_f16_sdwa v68, v15, s14 dst_sel:DWORD dst_unused:UNUSED_PAD src0_sel:WORD_1 src1_sel:DWORD
	v_add_f16_e32 v67, v4, v67
	v_fma_f16 v69, v1, s10, -v68
	v_add_f16_e32 v67, v69, v67
	v_mul_f16_sdwa v69, v14, s24 dst_sel:DWORD dst_unused:UNUSED_PAD src0_sel:WORD_1 src1_sel:DWORD
	v_fma_f16 v70, v12, s1, -v69
	v_add_f16_e32 v67, v70, v67
	v_mul_f16_sdwa v70, v11, s20 dst_sel:DWORD dst_unused:UNUSED_PAD src0_sel:WORD_1 src1_sel:DWORD
	;; [unrolled: 3-line block ×4, first 2 shown]
	v_fma_f16 v73, v9, s11, -v72
	v_add_f16_e32 v67, v73, v67
	v_pack_b32_f16 v29, v53, v29
	v_pack_b32_f16 v53, v67, v60
	v_pk_add_f16 v18, v19, v18
	v_mul_f16_sdwa v19, v20, s11 dst_sel:DWORD dst_unused:UNUSED_PAD src0_sel:WORD_1 src1_sel:DWORD
	ds_write2_b32 v41, v53, v29 offset0:3 offset1:4
	v_fma_f16 v29, v5, s21, v19
	v_mul_f16_sdwa v53, v1, s13 dst_sel:DWORD dst_unused:UNUSED_PAD src0_sel:WORD_1 src1_sel:DWORD
	v_add_f16_sdwa v29, v4, v29 dst_sel:DWORD dst_unused:UNUSED_PAD src0_sel:WORD_1 src1_sel:DWORD
	v_fma_f16 v60, v15, s17, v53
	v_add_f16_e32 v29, v60, v29
	v_mul_f16_sdwa v60, v12, s0 dst_sel:DWORD dst_unused:UNUSED_PAD src0_sel:WORD_1 src1_sel:DWORD
	v_fma_f16 v67, v14, s7, v60
	v_add_f16_e32 v29, v67, v29
	v_mul_f16_sdwa v67, v13, s10 dst_sel:DWORD dst_unused:UNUSED_PAD src0_sel:WORD_1 src1_sel:DWORD
	;; [unrolled: 3-line block ×5, first 2 shown]
	v_fma_f16 v76, v20, s11, -v75
	v_mul_f16_sdwa v77, v15, s17 dst_sel:DWORD dst_unused:UNUSED_PAD src0_sel:WORD_1 src1_sel:DWORD
	v_add_f16_e32 v76, v4, v76
	v_fma_f16 v78, v1, s13, -v77
	v_add_f16_e32 v76, v78, v76
	v_mul_f16_sdwa v78, v14, s7 dst_sel:DWORD dst_unused:UNUSED_PAD src0_sel:WORD_1 src1_sel:DWORD
	v_fma_f16 v79, v12, s0, -v78
	v_add_f16_e32 v76, v79, v76
	v_mul_f16_sdwa v79, v11, s25 dst_sel:DWORD dst_unused:UNUSED_PAD src0_sel:WORD_1 src1_sel:DWORD
	;; [unrolled: 3-line block ×4, first 2 shown]
	v_fma_f16 v82, v9, s1, -v81
	v_add_f16_e32 v76, v82, v76
	v_pack_b32_f16 v29, v76, v29
	ds_write2_b32 v41, v18, v29 offset1:5
	v_fma_f16 v18, v5, s22, v21
	v_fma_f16 v21, v5, s17, v59
	;; [unrolled: 1-line block ×6, first 2 shown]
	v_pk_mul_f16 v20, v20, s10 op_sel_hi:[1,0]
	v_fma_f16 v7, v5, s24, v7
	v_fma_f16 v19, v5, s23, v19
	v_pk_fma_f16 v66, v5, s14, v20 op_sel:[0,0,1] op_sel_hi:[1,0,0] neg_lo:[1,0,0] neg_hi:[1,0,0]
	v_pk_fma_f16 v5, v5, s14, v20 op_sel:[0,0,1] op_sel_hi:[1,0,0]
	v_add_f16_sdwa v18, v4, v18 dst_sel:DWORD dst_unused:UNUSED_PAD src0_sel:WORD_1 src1_sel:DWORD
	v_pk_add_f16 v20, v4, v28 op_sel:[1,0] op_sel_hi:[0,1]
	v_add_f16_sdwa v21, v4, v21 dst_sel:DWORD dst_unused:UNUSED_PAD src0_sel:WORD_1 src1_sel:DWORD
	v_add_f16_e32 v28, v4, v29
	v_add_f16_sdwa v7, v4, v7 dst_sel:DWORD dst_unused:UNUSED_PAD src0_sel:WORD_1 src1_sel:DWORD
	v_add_f16_e32 v29, v4, v52
	v_add_f16_sdwa v19, v4, v19 dst_sel:DWORD dst_unused:UNUSED_PAD src0_sel:WORD_1 src1_sel:DWORD
	v_add_f16_e32 v52, v4, v59
	v_add_f16_sdwa v27, v4, v27 dst_sel:DWORD dst_unused:UNUSED_PAD src0_sel:WORD_1 src1_sel:DWORD
	v_add_f16_e32 v39, v4, v39
	v_pk_add_f16 v59, v4, v66 op_sel:[1,0] op_sel_hi:[0,1]
	v_pk_add_f16 v4, v4, v5 op_sel:[1,0] op_sel_hi:[0,1]
	v_pk_mul_f16 v5, v1, s15 op_sel_hi:[1,0]
	v_pk_fma_f16 v66, v15, s20, v5 op_sel:[0,0,1] op_sel_hi:[1,0,0] neg_lo:[1,0,0] neg_hi:[1,0,0]
	v_pk_add_f16 v59, v66, v59
	v_pk_mul_f16 v66, v12, s11 op_sel_hi:[1,0]
	v_pk_fma_f16 v75, v14, s21, v66 op_sel:[0,0,1] op_sel_hi:[1,0,0] neg_lo:[1,0,0] neg_hi:[1,0,0]
	v_pk_add_f16 v59, v75, v59
	v_pk_mul_f16 v75, v13, s0 op_sel_hi:[1,0]
	v_pk_fma_f16 v76, v11, s22, v75 op_sel:[0,0,1] op_sel_hi:[1,0,0] neg_lo:[1,0,0] neg_hi:[1,0,0]
	v_pk_fma_f16 v5, v15, s20, v5 op_sel:[0,0,1] op_sel_hi:[1,0,0]
	v_pk_add_f16 v59, v76, v59
	v_pk_mul_f16 v76, v8, s1 op_sel_hi:[1,0]
	v_pk_add_f16 v4, v5, v4
	v_pk_fma_f16 v5, v14, s21, v66 op_sel:[0,0,1] op_sel_hi:[1,0,0]
	v_pk_fma_f16 v82, v10, s6, v76 op_sel:[0,0,1] op_sel_hi:[1,0,0] neg_lo:[1,0,0] neg_hi:[1,0,0]
	v_pk_add_f16 v4, v5, v4
	v_pk_fma_f16 v5, v11, s22, v75 op_sel:[0,0,1] op_sel_hi:[1,0,0]
	v_pk_add_f16 v59, v82, v59
	v_pk_mul_f16 v82, v9, s13 op_sel_hi:[1,0]
	v_pk_add_f16 v4, v5, v4
	v_pk_fma_f16 v5, v10, s6, v76 op_sel:[0,0,1] op_sel_hi:[1,0,0]
	v_pk_fma_f16 v83, v6, s17, v82 op_sel:[0,0,1] op_sel_hi:[1,0,0] neg_lo:[1,0,0] neg_hi:[1,0,0]
	v_pk_add_f16 v4, v5, v4
	v_pk_fma_f16 v5, v6, s17, v82 op_sel:[0,0,1] op_sel_hi:[1,0,0]
	v_pk_add_f16 v59, v83, v59
	v_pk_add_f16 v4, v5, v4
	v_alignbit_b32 v5, v59, v4, 16
	v_alignbit_b32 v4, v4, v59, 16
	ds_write2_b32 v41, v4, v5 offset0:6 offset1:7
	v_fma_f16 v4, v15, s24, v22
	v_add_f16_e32 v4, v4, v18
	v_fma_f16 v5, v14, s25, v23
	v_add_f16_e32 v4, v5, v4
	;; [unrolled: 2-line block ×4, first 2 shown]
	v_fma_f16 v5, v6, s18, v26
	v_fma_f16 v18, v15, s25, v61
	v_add_f16_e32 v4, v5, v4
	v_pk_add_f16 v5, v31, v20
	v_add_f16_e32 v18, v18, v21
	v_fma_f16 v20, v14, s6, v62
	v_add_f16_e32 v18, v20, v18
	v_fma_f16 v20, v11, s18, v63
	;; [unrolled: 2-line block ×8, first 2 shown]
	v_fma_f16 v15, v15, s19, v53
	v_add_f16_e32 v7, v21, v7
	v_fma_f16 v21, v14, s18, v48
	v_add_f16_e32 v15, v15, v19
	;; [unrolled: 2-line block ×6, first 2 shown]
	v_fma_f16 v14, v10, s22, v64
	v_fma_f16 v10, v10, s18, v73
	v_add_f16_e32 v7, v21, v7
	v_fma_f16 v21, v6, s7, v51
	v_add_f16_e32 v10, v10, v11
	;; [unrolled: 2-line block ×4, first 2 shown]
	v_fma_f16 v11, v1, s13, v77
	v_fma_f16 v1, v1, s0, v42
	v_add_f16_e32 v21, v21, v29
	v_fma_f16 v22, v12, s15, v55
	v_add_f16_e32 v11, v11, v52
	;; [unrolled: 2-line block ×9, first 2 shown]
	v_fma_f16 v8, v8, s11, v45
	v_pk_add_f16 v5, v33, v5
	v_add_f16_e32 v21, v22, v21
	v_fma_f16 v22, v9, s0, v58
	v_add_f16_e32 v11, v15, v11
	v_fma_f16 v15, v9, s1, v81
	;; [unrolled: 2-line block ×3, first 2 shown]
	v_pk_add_f16 v5, v35, v5
	v_add_f16_e32 v21, v22, v21
	v_add_f16_e32 v11, v15, v11
	;; [unrolled: 1-line block ×4, first 2 shown]
	v_pk_mul_f16 v8, v6, s16
	v_mul_f16_e32 v6, 0xb94e, v6
	v_add_f16_e32 v15, v32, v15
	v_pack_b32_f16 v7, v21, v7
	v_pack_b32_f16 v9, v11, v10
	v_bfi_b32 v6, s12, v6, v5
	v_add_f16_e32 v15, v34, v15
	ds_write2_b32 v41, v9, v7 offset0:8 offset1:9
	v_pack_b32_f16 v7, v14, v38
	v_bfi_b32 v8, s12, v18, v8
	v_pk_add_f16 v6, v65, v6 neg_lo:[0,1] neg_hi:[0,1]
	v_pk_add_f16 v5, v37, v5
	v_add_f16_e32 v15, v36, v15
	v_pk_add_f16 v7, v7, v8
	v_bfi_b32 v5, s12, v6, v5
	v_add_f16_e32 v15, v40, v15
	v_pk_add_f16 v5, v5, v7
	v_alignbit_b32 v4, v4, v5, 16
	v_pack_b32_f16 v5, v20, v5
	v_pack_b32_f16 v1, v1, v15
	ds_write2_b32 v41, v5, v4 offset0:10 offset1:11
	ds_write_b32 v41, v1 offset:48
.LBB0_13:
	s_or_b64 exec, exec, s[4:5]
	s_movk_i32 s0, 0x4f
	v_mul_lo_u16_sdwa v1, v0, s0 dst_sel:DWORD dst_unused:UNUSED_PAD src0_sel:BYTE_0 src1_sel:DWORD
	v_lshrrev_b16_e32 v1, 10, v1
	v_add_u16_e32 v7, 52, v0
	v_add_u16_e32 v11, 0x68, v0
	v_mul_lo_u16_e32 v4, 13, v1
	v_mul_lo_u16_sdwa v5, v7, s0 dst_sel:DWORD dst_unused:UNUSED_PAD src0_sel:BYTE_0 src1_sel:DWORD
	v_mul_lo_u16_sdwa v12, v11, s0 dst_sel:DWORD dst_unused:UNUSED_PAD src0_sel:BYTE_0 src1_sel:DWORD
	v_sub_u16_e32 v15, v0, v4
	v_mov_b32_e32 v10, 3
	v_lshrrev_b16_e32 v28, 10, v5
	v_lshrrev_b16_e32 v30, 10, v12
	v_mul_u32_u24_sdwa v4, v15, v10 dst_sel:DWORD dst_unused:UNUSED_PAD src0_sel:BYTE_0 src1_sel:DWORD
	v_mul_lo_u16_e32 v8, 13, v28
	v_mul_lo_u16_e32 v12, 13, v30
	v_lshlrev_b32_e32 v4, 2, v4
	v_sub_u16_e32 v29, v7, v8
	v_sub_u16_e32 v31, v11, v12
	s_waitcnt lgkmcnt(0)
	; wave barrier
	s_waitcnt lgkmcnt(0)
	global_load_dwordx3 v[4:6], v4, s[8:9]
	v_mul_u32_u24_sdwa v7, v29, v10 dst_sel:DWORD dst_unused:UNUSED_PAD src0_sel:BYTE_0 src1_sel:DWORD
	v_mul_u32_u24_sdwa v10, v31, v10 dst_sel:DWORD dst_unused:UNUSED_PAD src0_sel:BYTE_0 src1_sel:DWORD
	v_lshlrev_b32_e32 v10, 2, v10
	v_lshlrev_b32_e32 v7, 2, v7
	global_load_dwordx3 v[7:9], v7, s[8:9]
	v_add_u32_e32 v32, 0x200, v16
	global_load_dwordx3 v[10:12], v10, s[8:9]
	ds_read2_b32 v[13:14], v16 offset1:52
	ds_read2_b32 v[18:19], v16 offset0:104 offset1:156
	ds_read2_b32 v[20:21], v17 offset0:56 offset1:108
	;; [unrolled: 1-line block ×3, first 2 shown]
	v_add_u32_e32 v33, 0x800, v16
	ds_read2_b32 v[24:25], v32 offset0:80 offset1:132
	ds_read2_b32 v[26:27], v33 offset0:8 offset1:60
	s_waitcnt lgkmcnt(4)
	v_lshrrev_b32_e32 v35, 16, v19
	s_waitcnt lgkmcnt(3)
	v_lshrrev_b32_e32 v36, 16, v20
	;; [unrolled: 2-line block ×3, first 2 shown]
	v_lshrrev_b32_e32 v34, 16, v22
	v_lshrrev_b32_e32 v39, 16, v13
	;; [unrolled: 1-line block ×3, first 2 shown]
	s_waitcnt lgkmcnt(0)
	v_lshrrev_b32_e32 v40, 16, v26
	v_lshrrev_b32_e32 v43, 16, v24
	;; [unrolled: 1-line block ×4, first 2 shown]
	v_mul_u32_u24_e32 v1, 0xd0, v1
	s_waitcnt lgkmcnt(0)
	; wave barrier
	s_movk_i32 s0, 0x3aee
	s_mov_b32 s1, 0xbaee
	s_mov_b32 s4, 0xffff
	s_waitcnt vmcnt(2)
	v_mul_f16_sdwa v44, v4, v35 dst_sel:DWORD dst_unused:UNUSED_PAD src0_sel:WORD_1 src1_sel:DWORD
	v_mul_f16_sdwa v45, v4, v19 dst_sel:DWORD dst_unused:UNUSED_PAD src0_sel:WORD_1 src1_sel:DWORD
	;; [unrolled: 1-line block ×6, first 2 shown]
	v_fma_f16 v19, v4, v19, -v44
	v_fma_f16 v4, v4, v35, v45
	v_fma_f16 v20, v5, v20, -v46
	v_fma_f16 v5, v5, v36, v47
	;; [unrolled: 2-line block ×3, first 2 shown]
	s_waitcnt vmcnt(0)
	v_mul_f16_sdwa v58, v34, v11 dst_sel:DWORD dst_unused:UNUSED_PAD src0_sel:DWORD src1_sel:WORD_1
	v_mul_f16_sdwa v59, v22, v11 dst_sel:DWORD dst_unused:UNUSED_PAD src0_sel:DWORD src1_sel:WORD_1
	v_sub_f16_e32 v20, v13, v20
	v_sub_f16_e32 v5, v39, v5
	v_sub_f16_e32 v23, v19, v23
	v_sub_f16_e32 v6, v4, v6
	v_mul_f16_sdwa v50, v7, v43 dst_sel:DWORD dst_unused:UNUSED_PAD src0_sel:WORD_1 src1_sel:DWORD
	v_mul_f16_sdwa v51, v7, v24 dst_sel:DWORD dst_unused:UNUSED_PAD src0_sel:WORD_1 src1_sel:DWORD
	;; [unrolled: 1-line block ×4, first 2 shown]
	v_mul_f16_sdwa v54, v40, v9 dst_sel:DWORD dst_unused:UNUSED_PAD src0_sel:DWORD src1_sel:WORD_1
	v_mul_f16_sdwa v55, v26, v9 dst_sel:DWORD dst_unused:UNUSED_PAD src0_sel:DWORD src1_sel:WORD_1
	v_fma_f16 v22, v22, v11, -v58
	v_fma_f16 v11, v34, v11, v59
	v_fma_f16 v13, v13, 2.0, -v20
	v_fma_f16 v34, v39, 2.0, -v5
	v_fma_f16 v19, v19, 2.0, -v23
	v_fma_f16 v4, v4, 2.0, -v6
	v_fma_f16 v24, v7, v24, -v50
	v_fma_f16 v7, v7, v43, v51
	v_fma_f16 v21, v8, v21, -v52
	v_fma_f16 v8, v8, v38, v53
	;; [unrolled: 2-line block ×3, first 2 shown]
	v_sub_f16_e32 v19, v13, v19
	v_sub_f16_e32 v4, v34, v4
	;; [unrolled: 1-line block ×3, first 2 shown]
	v_add_f16_e32 v23, v5, v23
	v_lshrrev_b32_e32 v35, 16, v14
	v_mov_b32_e32 v37, 2
	v_fma_f16 v13, v13, 2.0, -v19
	v_fma_f16 v34, v34, 2.0, -v4
	;; [unrolled: 1-line block ×4, first 2 shown]
	v_sub_f16_e32 v21, v14, v21
	v_sub_f16_e32 v8, v35, v8
	v_sub_f16_e32 v26, v24, v26
	v_sub_f16_e32 v9, v7, v9
	v_lshlrev_b32_sdwa v15, v37, v15 dst_sel:DWORD dst_unused:UNUSED_PAD src0_sel:DWORD src1_sel:BYTE_0
	v_mul_f16_sdwa v56, v41, v10 dst_sel:DWORD dst_unused:UNUSED_PAD src0_sel:DWORD src1_sel:WORD_1
	v_mul_f16_sdwa v57, v25, v10 dst_sel:DWORD dst_unused:UNUSED_PAD src0_sel:DWORD src1_sel:WORD_1
	;; [unrolled: 1-line block ×4, first 2 shown]
	v_fma_f16 v14, v14, 2.0, -v21
	v_fma_f16 v35, v35, 2.0, -v8
	v_fma_f16 v24, v24, 2.0, -v26
	v_fma_f16 v7, v7, 2.0, -v9
	v_add3_u32 v1, 0, v1, v15
	v_pack_b32_f16 v13, v13, v34
	v_pack_b32_f16 v5, v20, v5
	v_fma_f16 v25, v25, v10, -v56
	v_fma_f16 v10, v41, v10, v57
	v_fma_f16 v27, v27, v12, -v60
	v_fma_f16 v12, v42, v12, v61
	v_sub_f16_e32 v24, v14, v24
	v_sub_f16_e32 v7, v35, v7
	;; [unrolled: 1-line block ×3, first 2 shown]
	v_add_f16_e32 v26, v8, v26
	v_lshrrev_b32_e32 v36, 16, v18
	ds_write2_b32 v1, v13, v5 offset1:13
	v_pack_b32_f16 v4, v19, v4
	v_pack_b32_f16 v5, v6, v23
	v_fma_f16 v14, v14, 2.0, -v24
	v_fma_f16 v35, v35, 2.0, -v7
	;; [unrolled: 1-line block ×4, first 2 shown]
	v_sub_f16_e32 v22, v18, v22
	v_sub_f16_e32 v11, v36, v11
	;; [unrolled: 1-line block ×4, first 2 shown]
	ds_write2_b32 v1, v4, v5 offset0:26 offset1:39
	v_mul_u32_u24_e32 v1, 0xd0, v28
	v_lshlrev_b32_sdwa v4, v37, v29 dst_sel:DWORD dst_unused:UNUSED_PAD src0_sel:DWORD src1_sel:BYTE_0
	v_fma_f16 v18, v18, 2.0, -v22
	v_fma_f16 v36, v36, 2.0, -v11
	;; [unrolled: 1-line block ×4, first 2 shown]
	v_add3_u32 v1, 0, v1, v4
	v_pack_b32_f16 v4, v14, v35
	v_pack_b32_f16 v5, v21, v8
	v_sub_f16_e32 v25, v18, v25
	v_sub_f16_e32 v10, v36, v10
	;; [unrolled: 1-line block ×3, first 2 shown]
	v_add_f16_e32 v27, v11, v27
	ds_write2_b32 v1, v4, v5 offset1:13
	v_pack_b32_f16 v4, v24, v7
	v_pack_b32_f16 v5, v9, v26
	v_fma_f16 v18, v18, 2.0, -v25
	v_fma_f16 v36, v36, 2.0, -v10
	;; [unrolled: 1-line block ×4, first 2 shown]
	ds_write2_b32 v1, v4, v5 offset0:26 offset1:39
	v_mul_u32_u24_e32 v1, 0xd0, v30
	v_lshlrev_b32_sdwa v4, v37, v31 dst_sel:DWORD dst_unused:UNUSED_PAD src0_sel:DWORD src1_sel:BYTE_0
	v_add3_u32 v1, 0, v1, v4
	v_pack_b32_f16 v4, v18, v36
	v_pack_b32_f16 v5, v22, v11
	ds_write2_b32 v1, v4, v5 offset1:13
	v_pack_b32_f16 v4, v25, v10
	v_pack_b32_f16 v5, v12, v27
	ds_write2_b32 v1, v4, v5 offset0:26 offset1:39
	v_mul_u32_u24_e32 v1, 5, v0
	v_lshlrev_b32_e32 v1, 2, v1
	s_waitcnt lgkmcnt(0)
	; wave barrier
	s_waitcnt lgkmcnt(0)
	global_load_dwordx4 v[4:7], v1, s[8:9] offset:156
	global_load_dword v22, v1, s[8:9] offset:172
	ds_read2_b32 v[8:9], v16 offset1:52
	ds_read2_b32 v[10:11], v16 offset0:104 offset1:156
	ds_read2_b32 v[12:13], v32 offset0:80 offset1:132
	;; [unrolled: 1-line block ×5, first 2 shown]
	s_waitcnt lgkmcnt(4)
	v_lshrrev_b32_e32 v29, 16, v10
	v_lshrrev_b32_e32 v24, 16, v11
	s_waitcnt lgkmcnt(3)
	v_lshrrev_b32_e32 v25, 16, v13
	s_waitcnt lgkmcnt(2)
	;; [unrolled: 2-line block ×4, first 2 shown]
	v_lshrrev_b32_e32 v28, 16, v21
	v_lshrrev_b32_e32 v1, 16, v8
	;; [unrolled: 1-line block ×3, first 2 shown]
	s_waitcnt lgkmcnt(0)
	; wave barrier
	s_waitcnt vmcnt(1)
	v_mul_f16_sdwa v30, v4, v29 dst_sel:DWORD dst_unused:UNUSED_PAD src0_sel:WORD_1 src1_sel:DWORD
	v_fma_f16 v30, v4, v10, -v30
	v_mul_f16_sdwa v10, v4, v10 dst_sel:DWORD dst_unused:UNUSED_PAD src0_sel:WORD_1 src1_sel:DWORD
	v_fma_f16 v10, v4, v29, v10
	v_lshrrev_b32_e32 v29, 16, v12
	v_mul_f16_sdwa v31, v5, v29 dst_sel:DWORD dst_unused:UNUSED_PAD src0_sel:WORD_1 src1_sel:DWORD
	v_fma_f16 v31, v5, v12, -v31
	v_mul_f16_sdwa v12, v5, v12 dst_sel:DWORD dst_unused:UNUSED_PAD src0_sel:WORD_1 src1_sel:DWORD
	v_fma_f16 v12, v5, v29, v12
	v_lshrrev_b32_e32 v29, 16, v14
	;; [unrolled: 5-line block ×4, first 2 shown]
	s_waitcnt vmcnt(0)
	v_mul_f16_sdwa v36, v22, v29 dst_sel:DWORD dst_unused:UNUSED_PAD src0_sel:WORD_1 src1_sel:DWORD
	v_fma_f16 v36, v22, v20, -v36
	v_mul_f16_sdwa v20, v22, v20 dst_sel:DWORD dst_unused:UNUSED_PAD src0_sel:WORD_1 src1_sel:DWORD
	v_fma_f16 v20, v22, v29, v20
	v_mul_f16_sdwa v29, v24, v4 dst_sel:DWORD dst_unused:UNUSED_PAD src0_sel:DWORD src1_sel:WORD_1
	v_fma_f16 v29, v11, v4, -v29
	v_mul_f16_sdwa v11, v11, v4 dst_sel:DWORD dst_unused:UNUSED_PAD src0_sel:DWORD src1_sel:WORD_1
	v_fma_f16 v4, v24, v4, v11
	v_mul_f16_sdwa v11, v25, v5 dst_sel:DWORD dst_unused:UNUSED_PAD src0_sel:DWORD src1_sel:WORD_1
	v_fma_f16 v11, v13, v5, -v11
	v_mul_f16_sdwa v13, v13, v5 dst_sel:DWORD dst_unused:UNUSED_PAD src0_sel:DWORD src1_sel:WORD_1
	;; [unrolled: 4-line block ×4, first 2 shown]
	v_fma_f16 v7, v27, v7, v19
	v_mul_f16_sdwa v19, v28, v22 dst_sel:DWORD dst_unused:UNUSED_PAD src0_sel:DWORD src1_sel:WORD_1
	v_add_f16_e32 v26, v34, v36
	v_fma_f16 v19, v21, v22, -v19
	v_mul_f16_sdwa v21, v21, v22 dst_sel:DWORD dst_unused:UNUSED_PAD src0_sel:DWORD src1_sel:WORD_1
	v_add_f16_e32 v24, v31, v35
	v_fma_f16 v26, v26, -0.5, v30
	v_sub_f16_e32 v27, v14, v20
	v_fma_f16 v21, v28, v22, v21
	v_add_f16_e32 v22, v8, v31
	v_fma_f16 v8, v24, -0.5, v8
	v_sub_f16_e32 v24, v12, v18
	v_fma_f16 v28, v27, s0, v26
	v_fma_f16 v26, v27, s1, v26
	v_add_f16_e32 v27, v10, v14
	v_add_f16_e32 v14, v14, v20
	v_fma_f16 v25, v24, s0, v8
	v_fma_f16 v8, v24, s1, v8
	v_add_f16_e32 v24, v1, v12
	v_add_f16_e32 v12, v12, v18
	v_fma_f16 v10, v14, -0.5, v10
	v_sub_f16_e32 v14, v34, v36
	v_fma_f16 v1, v12, -0.5, v1
	v_sub_f16_e32 v12, v31, v35
	v_add_f16_e32 v27, v27, v20
	v_fma_f16 v20, v14, s1, v10
	v_add_f16_e32 v24, v24, v18
	v_fma_f16 v18, v12, s1, v1
	v_fma_f16 v1, v12, s0, v1
	v_add_f16_e32 v12, v30, v34
	v_mul_f16_e32 v30, 0x3aee, v20
	v_fma_f16 v10, v14, s0, v10
	v_fma_f16 v30, v28, 0.5, v30
	v_mul_f16_e32 v34, -0.5, v26
	v_mul_f16_e32 v28, 0xbaee, v28
	v_fma_f16 v34, v10, s0, v34
	v_fma_f16 v20, v20, 0.5, v28
	v_mul_f16_e32 v10, -0.5, v10
	v_add_f16_e32 v28, v18, v20
	v_fma_f16 v10, v26, s1, v10
	v_sub_f16_e32 v18, v18, v20
	v_add_f16_e32 v20, v11, v15
	v_add_f16_e32 v22, v22, v35
	;; [unrolled: 1-line block ×4, first 2 shown]
	v_sub_f16_e32 v1, v1, v10
	v_add_f16_e32 v10, v9, v11
	v_fma_f16 v9, v20, -0.5, v9
	v_sub_f16_e32 v20, v5, v7
	v_add_f16_e32 v14, v22, v12
	v_add_f16_e32 v31, v25, v30
	v_sub_f16_e32 v12, v22, v12
	v_sub_f16_e32 v22, v25, v30
	v_fma_f16 v25, v20, s0, v9
	v_fma_f16 v9, v20, s1, v9
	v_add_f16_e32 v20, v23, v5
	v_add_f16_e32 v10, v10, v15
	v_add_f16_e32 v20, v20, v7
	v_add_f16_e32 v5, v5, v7
	v_sub_f16_e32 v7, v11, v15
	v_add_f16_e32 v15, v13, v19
	v_fma_f16 v5, v5, -0.5, v23
	v_fma_f16 v15, v15, -0.5, v29
	v_sub_f16_e32 v23, v6, v21
	v_add_f16_e32 v36, v24, v27
	v_sub_f16_e32 v24, v24, v27
	v_fma_f16 v27, v23, s0, v15
	v_fma_f16 v15, v23, s1, v15
	v_add_f16_e32 v23, v4, v6
	v_add_f16_e32 v6, v6, v21
	v_fma_f16 v4, v6, -0.5, v4
	v_sub_f16_e32 v6, v13, v19
	v_fma_f16 v11, v7, s1, v5
	v_fma_f16 v5, v7, s0, v5
	v_add_f16_e32 v7, v29, v13
	v_fma_f16 v13, v6, s1, v4
	v_add_f16_e32 v7, v7, v19
	v_fma_f16 v4, v6, s0, v4
	v_mul_f16_e32 v19, 0x3aee, v13
	v_mul_f16_e32 v29, -0.5, v15
	v_fma_f16 v19, v27, 0.5, v19
	v_fma_f16 v29, v4, s0, v29
	v_mul_f16_e32 v27, 0xbaee, v27
	v_mul_f16_e32 v4, -0.5, v4
	v_fma_f16 v13, v13, 0.5, v27
	v_fma_f16 v4, v15, s1, v4
	v_add_f16_e32 v35, v8, v34
	v_add_f16_e32 v27, v11, v13
	;; [unrolled: 1-line block ×3, first 2 shown]
	v_sub_f16_e32 v11, v11, v13
	v_sub_f16_e32 v4, v5, v4
	v_pack_b32_f16 v5, v14, v36
	v_pack_b32_f16 v13, v31, v28
	v_sub_f16_e32 v8, v8, v34
	v_add_f16_e32 v23, v23, v21
	ds_write2_b32 v16, v5, v13 offset1:52
	v_pack_b32_f16 v5, v35, v26
	v_pack_b32_f16 v12, v12, v24
	v_add_f16_e32 v6, v10, v7
	v_add_f16_e32 v21, v25, v19
	;; [unrolled: 1-line block ×3, first 2 shown]
	ds_write2_b32 v16, v5, v12 offset0:104 offset1:156
	v_pack_b32_f16 v5, v22, v18
	v_pack_b32_f16 v1, v8, v1
	v_add_f16_e32 v30, v9, v29
	v_sub_f16_e32 v7, v10, v7
	v_sub_f16_e32 v10, v25, v19
	;; [unrolled: 1-line block ×3, first 2 shown]
	ds_write2_b32 v32, v5, v1 offset0:80 offset1:132
	v_pack_b32_f16 v1, v6, v34
	v_pack_b32_f16 v5, v21, v27
	v_sub_f16_e32 v9, v9, v29
	ds_write2_b32 v17, v1, v5 offset0:56 offset1:108
	v_pack_b32_f16 v1, v30, v15
	v_pack_b32_f16 v5, v7, v19
	ds_write2_b32 v17, v1, v5 offset0:160 offset1:212
	v_pack_b32_f16 v1, v10, v11
	v_pack_b32_f16 v4, v9, v4
	ds_write2_b32 v33, v1, v4 offset0:8 offset1:60
	v_mov_b32_e32 v1, 0
	v_lshlrev_b64 v[4:5], 2, v[0:1]
	v_mov_b32_e32 v1, s9
	v_add_co_u32_e64 v6, s[0:1], s8, v4
	v_addc_co_u32_e64 v7, s[0:1], v1, v5, s[0:1]
	s_waitcnt lgkmcnt(0)
	; wave barrier
	s_waitcnt lgkmcnt(0)
	global_load_dword v1, v[6:7], off offset:1196
	global_load_dword v22, v[6:7], off offset:1404
	;; [unrolled: 1-line block ×6, first 2 shown]
	ds_read2_b32 v[8:9], v16 offset1:52
	ds_read2_b32 v[10:11], v17 offset0:56 offset1:108
	ds_read2_b32 v[12:13], v16 offset0:104 offset1:156
	;; [unrolled: 1-line block ×5, first 2 shown]
	s_waitcnt lgkmcnt(0)
	; wave barrier
	s_waitcnt lgkmcnt(0)
	v_cmp_ne_u32_e64 s[0:1], 0, v0
	s_waitcnt vmcnt(5)
	v_pk_mul_f16 v27, v1, v10 op_sel:[0,1]
	v_pk_fma_f16 v28, v1, v10, v27 op_sel:[0,0,1] op_sel_hi:[1,1,0] neg_lo:[0,0,1] neg_hi:[0,0,1]
	v_pk_fma_f16 v1, v1, v10, v27 op_sel:[0,0,1] op_sel_hi:[1,0,0]
	s_waitcnt vmcnt(4)
	v_pk_mul_f16 v10, v22, v11 op_sel:[0,1]
	v_pk_fma_f16 v27, v22, v11, v10 op_sel:[0,0,1] op_sel_hi:[1,1,0] neg_lo:[0,0,1] neg_hi:[0,0,1]
	v_pk_fma_f16 v10, v22, v11, v10 op_sel:[0,0,1] op_sel_hi:[1,0,0]
	;; [unrolled: 4-line block ×3, first 2 shown]
	s_waitcnt vmcnt(2)
	v_pk_mul_f16 v14, v24, v15 op_sel:[0,1]
	v_bfi_b32 v11, s4, v22, v11
	v_pk_fma_f16 v22, v24, v15, v14 op_sel:[0,0,1] op_sel_hi:[1,1,0] neg_lo:[0,0,1] neg_hi:[0,0,1]
	v_pk_fma_f16 v14, v24, v15, v14 op_sel:[0,0,1] op_sel_hi:[1,0,0]
	s_waitcnt vmcnt(1)
	v_pk_mul_f16 v15, v25, v20 op_sel:[0,1]
	v_bfi_b32 v14, s4, v22, v14
	v_pk_fma_f16 v22, v25, v20, v15 op_sel:[0,0,1] op_sel_hi:[1,1,0] neg_lo:[0,0,1] neg_hi:[0,0,1]
	v_pk_fma_f16 v15, v25, v20, v15 op_sel:[0,0,1] op_sel_hi:[1,0,0]
	s_waitcnt vmcnt(0)
	v_pk_mul_f16 v20, v21, v26 op_sel:[0,1]
	v_bfi_b32 v1, s4, v28, v1
	v_bfi_b32 v10, s4, v27, v10
	;; [unrolled: 1-line block ×3, first 2 shown]
	v_pk_fma_f16 v22, v21, v26, v20 op_sel:[0,0,1] op_sel_hi:[1,1,0] neg_lo:[0,0,1] neg_hi:[0,0,1]
	v_pk_fma_f16 v20, v21, v26, v20 op_sel:[0,0,1] op_sel_hi:[1,0,0]
	v_pk_add_f16 v1, v8, v1 neg_lo:[0,1] neg_hi:[0,1]
	v_pk_add_f16 v10, v9, v10 neg_lo:[0,1] neg_hi:[0,1]
	v_bfi_b32 v20, s4, v22, v20
	v_pk_fma_f16 v8, v8, 2.0, v1 op_sel_hi:[1,0,1] neg_lo:[0,0,1] neg_hi:[0,0,1]
	v_pk_fma_f16 v9, v9, 2.0, v10 op_sel_hi:[1,0,1] neg_lo:[0,0,1] neg_hi:[0,0,1]
	v_pk_add_f16 v11, v12, v11 neg_lo:[0,1] neg_hi:[0,1]
	v_pk_add_f16 v14, v13, v14 neg_lo:[0,1] neg_hi:[0,1]
	;; [unrolled: 1-line block ×4, first 2 shown]
	v_pk_fma_f16 v12, v12, 2.0, v11 op_sel_hi:[1,0,1] neg_lo:[0,0,1] neg_hi:[0,0,1]
	v_pk_fma_f16 v13, v13, 2.0, v14 op_sel_hi:[1,0,1] neg_lo:[0,0,1] neg_hi:[0,0,1]
	;; [unrolled: 1-line block ×4, first 2 shown]
	ds_write2_b32 v16, v8, v9 offset1:52
	ds_write2_b32 v17, v1, v10 offset0:56 offset1:108
	ds_write2_b32 v16, v12, v13 offset0:104 offset1:156
	;; [unrolled: 1-line block ×5, first 2 shown]
	s_waitcnt lgkmcnt(0)
	; wave barrier
	s_waitcnt lgkmcnt(0)
	ds_read_b32 v11, v16
	v_lshlrev_b32_e32 v1, 2, v0
	v_sub_u32_e32 v1, 0, v1
                                        ; implicit-def: $vgpr10
                                        ; implicit-def: $vgpr8
                                        ; implicit-def: $vgpr9
	s_and_saveexec_b64 s[6:7], s[0:1]
	s_xor_b64 s[0:1], exec, s[6:7]
	s_cbranch_execz .LBB0_15
; %bb.14:
	global_load_dword v6, v[6:7], off offset:2444
	ds_read_b32 v7, v1 offset:2496
	s_waitcnt lgkmcnt(0)
	v_pk_add_f16 v8, v11, v7 neg_lo:[0,1] neg_hi:[0,1]
	v_pk_add_f16 v7, v7, v11
	v_bfi_b32 v9, s4, v8, v7
	v_bfi_b32 v7, s4, v7, v8
	v_pk_mul_f16 v8, v9, 0.5 op_sel_hi:[1,0]
	v_pk_mul_f16 v9, v7, 0.5 op_sel_hi:[1,0]
                                        ; implicit-def: $vgpr11
	s_waitcnt vmcnt(0)
	v_pk_mul_f16 v10, v6, v8 op_sel:[1,0]
	v_pk_mul_f16 v6, v6, v8 op_sel_hi:[0,1]
	v_pk_fma_f16 v7, v7, 0.5, v10 op_sel_hi:[1,0,1]
	v_sub_f16_e32 v8, v9, v10
	v_sub_f16_sdwa v9, v10, v9 dst_sel:DWORD dst_unused:UNUSED_PAD src0_sel:WORD_1 src1_sel:WORD_1
	v_pk_add_f16 v10, v7, v6 op_sel:[0,1] op_sel_hi:[1,0]
	v_pk_add_f16 v7, v7, v6 op_sel:[0,1] op_sel_hi:[1,0] neg_lo:[0,1] neg_hi:[0,1]
	v_sub_f16_sdwa v8, v8, v6 dst_sel:DWORD dst_unused:UNUSED_PAD src0_sel:DWORD src1_sel:WORD_1
	v_bfi_b32 v10, s4, v10, v7
	v_sub_f16_e32 v9, v9, v6
.LBB0_15:
	s_andn2_saveexec_b64 s[0:1], s[0:1]
	s_cbranch_execz .LBB0_17
; %bb.16:
	v_mov_b32_e32 v9, 0
	ds_read_u16 v6, v9 offset:1250
	s_waitcnt lgkmcnt(1)
	v_alignbit_b32 v7, s0, v11, 16
	v_pk_add_f16 v7, v7, v11
	v_sub_f16_sdwa v8, v11, v11 dst_sel:DWORD dst_unused:UNUSED_PAD src0_sel:DWORD src1_sel:WORD_1
	v_pack_b32_f16 v10, v7, 0
	s_waitcnt lgkmcnt(0)
	v_xor_b32_e32 v6, 0x8000, v6
	ds_write_b16 v9, v6 offset:1250
.LBB0_17:
	s_or_b64 exec, exec, s[0:1]
	s_add_u32 s0, s8, 0x98c
	s_addc_u32 s1, s9, 0
	v_mov_b32_e32 v7, s1
	v_add_co_u32_e64 v6, s[0:1], s0, v4
	v_addc_co_u32_e64 v7, s[0:1], v7, v5, s[0:1]
	s_waitcnt lgkmcnt(0)
	global_load_dword v11, v[6:7], off offset:208
	global_load_dword v12, v[6:7], off offset:416
	;; [unrolled: 1-line block ×3, first 2 shown]
	ds_write_b16 v1, v9 offset:2498
	ds_write_b32 v16, v10
	ds_write_b16 v1, v8 offset:2496
	ds_read_b32 v8, v16 offset:208
	ds_read_b32 v9, v1 offset:2288
	global_load_dword v10, v[6:7], off offset:832
	global_load_dword v14, v[6:7], off offset:1040
	s_mov_b32 s0, 0xffff
	s_waitcnt lgkmcnt(0)
	v_pk_add_f16 v6, v8, v9 neg_lo:[0,1] neg_hi:[0,1]
	v_pk_add_f16 v7, v8, v9
	v_bfi_b32 v8, s0, v6, v7
	v_bfi_b32 v6, s0, v7, v6
	v_pk_mul_f16 v7, v8, 0.5 op_sel_hi:[1,0]
	v_pk_mul_f16 v6, v6, 0.5 op_sel_hi:[1,0]
	s_waitcnt vmcnt(4)
	v_pk_fma_f16 v8, v11, v7, v6 op_sel:[1,0,0]
	v_pk_mul_f16 v9, v11, v7 op_sel_hi:[0,1]
	v_pk_fma_f16 v15, v11, v7, v6 op_sel:[1,0,0] neg_lo:[1,0,0] neg_hi:[1,0,0]
	v_pk_fma_f16 v6, v11, v7, v6 op_sel:[1,0,0] neg_lo:[0,0,1] neg_hi:[0,0,1]
	v_pk_add_f16 v7, v8, v9 op_sel:[0,1] op_sel_hi:[1,0]
	v_pk_add_f16 v8, v8, v9 op_sel:[0,1] op_sel_hi:[1,0] neg_lo:[0,1] neg_hi:[0,1]
	v_pk_add_f16 v11, v15, v9 op_sel:[0,1] op_sel_hi:[1,0] neg_lo:[0,1] neg_hi:[0,1]
	v_pk_add_f16 v6, v6, v9 op_sel:[0,1] op_sel_hi:[1,0] neg_lo:[0,1] neg_hi:[0,1]
	v_bfi_b32 v7, s0, v7, v8
	v_bfi_b32 v6, s0, v11, v6
	ds_write_b32 v16, v7 offset:208
	ds_write_b32 v1, v6 offset:2288
	ds_read_b32 v6, v16 offset:416
	ds_read_b32 v7, v1 offset:2080
	s_waitcnt lgkmcnt(0)
	v_pk_add_f16 v8, v6, v7 neg_lo:[0,1] neg_hi:[0,1]
	v_pk_add_f16 v6, v6, v7
	v_bfi_b32 v7, s0, v8, v6
	v_bfi_b32 v6, s0, v6, v8
	v_pk_mul_f16 v7, v7, 0.5 op_sel_hi:[1,0]
	v_pk_mul_f16 v6, v6, 0.5 op_sel_hi:[1,0]
	s_waitcnt vmcnt(3)
	v_pk_fma_f16 v8, v12, v7, v6 op_sel:[1,0,0]
	v_pk_mul_f16 v9, v12, v7 op_sel_hi:[0,1]
	v_pk_fma_f16 v11, v12, v7, v6 op_sel:[1,0,0] neg_lo:[1,0,0] neg_hi:[1,0,0]
	v_pk_fma_f16 v6, v12, v7, v6 op_sel:[1,0,0] neg_lo:[0,0,1] neg_hi:[0,0,1]
	v_pk_add_f16 v7, v8, v9 op_sel:[0,1] op_sel_hi:[1,0]
	v_pk_add_f16 v8, v8, v9 op_sel:[0,1] op_sel_hi:[1,0] neg_lo:[0,1] neg_hi:[0,1]
	v_pk_add_f16 v11, v11, v9 op_sel:[0,1] op_sel_hi:[1,0] neg_lo:[0,1] neg_hi:[0,1]
	;; [unrolled: 1-line block ×3, first 2 shown]
	v_bfi_b32 v7, s0, v7, v8
	v_bfi_b32 v6, s0, v11, v6
	ds_write_b32 v16, v7 offset:416
	ds_write_b32 v1, v6 offset:2080
	ds_read_b32 v6, v16 offset:624
	ds_read_b32 v7, v1 offset:1872
	s_waitcnt lgkmcnt(0)
	v_pk_add_f16 v8, v6, v7 neg_lo:[0,1] neg_hi:[0,1]
	v_pk_add_f16 v6, v6, v7
	v_bfi_b32 v7, s0, v8, v6
	v_bfi_b32 v6, s0, v6, v8
	v_pk_mul_f16 v7, v7, 0.5 op_sel_hi:[1,0]
	v_pk_mul_f16 v8, v6, 0.5 op_sel_hi:[1,0]
	s_waitcnt vmcnt(2)
	v_pk_mul_f16 v9, v13, v7 op_sel:[1,0]
	v_pk_mul_f16 v7, v13, v7 op_sel_hi:[0,1]
	v_pk_fma_f16 v6, v6, 0.5, v9 op_sel_hi:[1,0,1]
	v_sub_f16_e32 v11, v8, v9
	v_sub_f16_sdwa v8, v9, v8 dst_sel:DWORD dst_unused:UNUSED_PAD src0_sel:WORD_1 src1_sel:WORD_1
	v_pk_add_f16 v9, v6, v7 op_sel:[0,1] op_sel_hi:[1,0]
	v_pk_add_f16 v6, v6, v7 op_sel:[0,1] op_sel_hi:[1,0] neg_lo:[0,1] neg_hi:[0,1]
	v_sub_f16_sdwa v11, v11, v7 dst_sel:DWORD dst_unused:UNUSED_PAD src0_sel:DWORD src1_sel:WORD_1
	v_sub_f16_e32 v7, v8, v7
	v_bfi_b32 v6, s0, v9, v6
	ds_write_b16 v1, v7 offset:1874
	ds_write_b32 v16, v6 offset:624
	ds_write_b16 v1, v11 offset:1872
	ds_read_b32 v6, v16 offset:832
	ds_read_b32 v7, v1 offset:1664
	s_waitcnt lgkmcnt(0)
	v_pk_add_f16 v8, v6, v7 neg_lo:[0,1] neg_hi:[0,1]
	v_pk_add_f16 v6, v6, v7
	v_bfi_b32 v7, s0, v8, v6
	v_bfi_b32 v6, s0, v6, v8
	v_pk_mul_f16 v7, v7, 0.5 op_sel_hi:[1,0]
	v_pk_mul_f16 v6, v6, 0.5 op_sel_hi:[1,0]
	s_waitcnt vmcnt(1)
	v_pk_fma_f16 v8, v10, v7, v6 op_sel:[1,0,0]
	v_pk_mul_f16 v9, v10, v7 op_sel_hi:[0,1]
	v_pk_fma_f16 v11, v10, v7, v6 op_sel:[1,0,0] neg_lo:[1,0,0] neg_hi:[1,0,0]
	v_pk_fma_f16 v6, v10, v7, v6 op_sel:[1,0,0] neg_lo:[0,0,1] neg_hi:[0,0,1]
	v_pk_add_f16 v7, v8, v9 op_sel:[0,1] op_sel_hi:[1,0]
	v_pk_add_f16 v8, v8, v9 op_sel:[0,1] op_sel_hi:[1,0] neg_lo:[0,1] neg_hi:[0,1]
	v_pk_add_f16 v10, v11, v9 op_sel:[0,1] op_sel_hi:[1,0] neg_lo:[0,1] neg_hi:[0,1]
	;; [unrolled: 1-line block ×3, first 2 shown]
	v_bfi_b32 v7, s0, v7, v8
	v_bfi_b32 v6, s0, v10, v6
	ds_write_b32 v16, v7 offset:832
	ds_write_b32 v1, v6 offset:1664
	ds_read_b32 v6, v16 offset:1040
	ds_read_b32 v7, v1 offset:1456
	s_waitcnt lgkmcnt(0)
	v_pk_add_f16 v8, v6, v7 neg_lo:[0,1] neg_hi:[0,1]
	v_pk_add_f16 v6, v6, v7
	v_bfi_b32 v7, s0, v8, v6
	v_bfi_b32 v6, s0, v6, v8
	v_pk_mul_f16 v7, v7, 0.5 op_sel_hi:[1,0]
	v_pk_mul_f16 v6, v6, 0.5 op_sel_hi:[1,0]
	s_waitcnt vmcnt(0)
	v_pk_fma_f16 v8, v14, v7, v6 op_sel:[1,0,0]
	v_pk_mul_f16 v9, v14, v7 op_sel_hi:[0,1]
	v_pk_fma_f16 v10, v14, v7, v6 op_sel:[1,0,0] neg_lo:[1,0,0] neg_hi:[1,0,0]
	v_pk_fma_f16 v6, v14, v7, v6 op_sel:[1,0,0] neg_lo:[0,0,1] neg_hi:[0,0,1]
	v_pk_add_f16 v7, v8, v9 op_sel:[0,1] op_sel_hi:[1,0]
	v_pk_add_f16 v8, v8, v9 op_sel:[0,1] op_sel_hi:[1,0] neg_lo:[0,1] neg_hi:[0,1]
	v_pk_add_f16 v10, v10, v9 op_sel:[0,1] op_sel_hi:[1,0] neg_lo:[0,1] neg_hi:[0,1]
	;; [unrolled: 1-line block ×3, first 2 shown]
	v_bfi_b32 v7, s0, v7, v8
	v_bfi_b32 v6, s0, v10, v6
	ds_write_b32 v16, v7 offset:1040
	ds_write_b32 v1, v6 offset:1456
	s_waitcnt lgkmcnt(0)
	; wave barrier
	s_waitcnt lgkmcnt(0)
	s_and_saveexec_b64 s[0:1], vcc
	s_cbranch_execz .LBB0_20
; %bb.18:
	ds_read2_b32 v[6:7], v16 offset1:52
	v_mov_b32_e32 v8, s3
	v_add_co_u32_e32 v1, vcc, s2, v2
	v_addc_co_u32_e32 v2, vcc, v8, v3, vcc
	v_add_co_u32_e32 v3, vcc, v1, v4
	ds_read2_b32 v[8:9], v16 offset0:104 offset1:156
	v_addc_co_u32_e32 v4, vcc, v2, v5, vcc
	v_add_u32_e32 v5, 0x200, v16
	ds_read2_b32 v[10:11], v5 offset0:80 offset1:132
	s_waitcnt lgkmcnt(2)
	global_store_dword v[3:4], v6, off
	global_store_dword v[3:4], v7, off offset:208
	s_waitcnt lgkmcnt(1)
	global_store_dword v[3:4], v8, off offset:416
	global_store_dword v[3:4], v9, off offset:624
	s_waitcnt lgkmcnt(0)
	global_store_dword v[3:4], v10, off offset:832
	v_add_u32_e32 v7, 0x400, v16
	ds_read2_b32 v[5:6], v7 offset0:56 offset1:108
	ds_read2_b32 v[7:8], v7 offset0:160 offset1:212
	v_add_u32_e32 v9, 0x800, v16
	ds_read2_b32 v[9:10], v9 offset0:8 offset1:60
	v_cmp_eq_u32_e32 vcc, 51, v0
	global_store_dword v[3:4], v11, off offset:1040
	s_waitcnt lgkmcnt(2)
	global_store_dword v[3:4], v5, off offset:1248
	global_store_dword v[3:4], v6, off offset:1456
	s_waitcnt lgkmcnt(1)
	global_store_dword v[3:4], v7, off offset:1664
	;; [unrolled: 3-line block ×3, first 2 shown]
	global_store_dword v[3:4], v10, off offset:2288
	s_and_b64 exec, exec, vcc
	s_cbranch_execz .LBB0_20
; %bb.19:
	v_mov_b32_e32 v0, 0
	ds_read_b32 v0, v0 offset:2496
	s_waitcnt lgkmcnt(0)
	global_store_dword v[1:2], v0, off offset:2496
.LBB0_20:
	s_endpgm
	.section	.rodata,"a",@progbits
	.p2align	6, 0x0
	.amdhsa_kernel fft_rtc_fwd_len624_factors_13_4_6_2_wgs_52_tpt_52_half_ip_CI_unitstride_sbrr_R2C_dirReg
		.amdhsa_group_segment_fixed_size 0
		.amdhsa_private_segment_fixed_size 0
		.amdhsa_kernarg_size 88
		.amdhsa_user_sgpr_count 6
		.amdhsa_user_sgpr_private_segment_buffer 1
		.amdhsa_user_sgpr_dispatch_ptr 0
		.amdhsa_user_sgpr_queue_ptr 0
		.amdhsa_user_sgpr_kernarg_segment_ptr 1
		.amdhsa_user_sgpr_dispatch_id 0
		.amdhsa_user_sgpr_flat_scratch_init 0
		.amdhsa_user_sgpr_private_segment_size 0
		.amdhsa_uses_dynamic_stack 0
		.amdhsa_system_sgpr_private_segment_wavefront_offset 0
		.amdhsa_system_sgpr_workgroup_id_x 1
		.amdhsa_system_sgpr_workgroup_id_y 0
		.amdhsa_system_sgpr_workgroup_id_z 0
		.amdhsa_system_sgpr_workgroup_info 0
		.amdhsa_system_vgpr_workitem_id 0
		.amdhsa_next_free_vgpr 84
		.amdhsa_next_free_sgpr 26
		.amdhsa_reserve_vcc 1
		.amdhsa_reserve_flat_scratch 0
		.amdhsa_float_round_mode_32 0
		.amdhsa_float_round_mode_16_64 0
		.amdhsa_float_denorm_mode_32 3
		.amdhsa_float_denorm_mode_16_64 3
		.amdhsa_dx10_clamp 1
		.amdhsa_ieee_mode 1
		.amdhsa_fp16_overflow 0
		.amdhsa_exception_fp_ieee_invalid_op 0
		.amdhsa_exception_fp_denorm_src 0
		.amdhsa_exception_fp_ieee_div_zero 0
		.amdhsa_exception_fp_ieee_overflow 0
		.amdhsa_exception_fp_ieee_underflow 0
		.amdhsa_exception_fp_ieee_inexact 0
		.amdhsa_exception_int_div_zero 0
	.end_amdhsa_kernel
	.text
.Lfunc_end0:
	.size	fft_rtc_fwd_len624_factors_13_4_6_2_wgs_52_tpt_52_half_ip_CI_unitstride_sbrr_R2C_dirReg, .Lfunc_end0-fft_rtc_fwd_len624_factors_13_4_6_2_wgs_52_tpt_52_half_ip_CI_unitstride_sbrr_R2C_dirReg
                                        ; -- End function
	.section	.AMDGPU.csdata,"",@progbits
; Kernel info:
; codeLenInByte = 8460
; NumSgprs: 30
; NumVgprs: 84
; ScratchSize: 0
; MemoryBound: 0
; FloatMode: 240
; IeeeMode: 1
; LDSByteSize: 0 bytes/workgroup (compile time only)
; SGPRBlocks: 3
; VGPRBlocks: 20
; NumSGPRsForWavesPerEU: 30
; NumVGPRsForWavesPerEU: 84
; Occupancy: 3
; WaveLimiterHint : 1
; COMPUTE_PGM_RSRC2:SCRATCH_EN: 0
; COMPUTE_PGM_RSRC2:USER_SGPR: 6
; COMPUTE_PGM_RSRC2:TRAP_HANDLER: 0
; COMPUTE_PGM_RSRC2:TGID_X_EN: 1
; COMPUTE_PGM_RSRC2:TGID_Y_EN: 0
; COMPUTE_PGM_RSRC2:TGID_Z_EN: 0
; COMPUTE_PGM_RSRC2:TIDIG_COMP_CNT: 0
	.type	__hip_cuid_86f676896fe6d011,@object ; @__hip_cuid_86f676896fe6d011
	.section	.bss,"aw",@nobits
	.globl	__hip_cuid_86f676896fe6d011
__hip_cuid_86f676896fe6d011:
	.byte	0                               ; 0x0
	.size	__hip_cuid_86f676896fe6d011, 1

	.ident	"AMD clang version 19.0.0git (https://github.com/RadeonOpenCompute/llvm-project roc-6.4.0 25133 c7fe45cf4b819c5991fe208aaa96edf142730f1d)"
	.section	".note.GNU-stack","",@progbits
	.addrsig
	.addrsig_sym __hip_cuid_86f676896fe6d011
	.amdgpu_metadata
---
amdhsa.kernels:
  - .args:
      - .actual_access:  read_only
        .address_space:  global
        .offset:         0
        .size:           8
        .value_kind:     global_buffer
      - .offset:         8
        .size:           8
        .value_kind:     by_value
      - .actual_access:  read_only
        .address_space:  global
        .offset:         16
        .size:           8
        .value_kind:     global_buffer
      - .actual_access:  read_only
        .address_space:  global
        .offset:         24
        .size:           8
        .value_kind:     global_buffer
      - .offset:         32
        .size:           8
        .value_kind:     by_value
      - .actual_access:  read_only
        .address_space:  global
        .offset:         40
        .size:           8
        .value_kind:     global_buffer
      - .actual_access:  read_only
        .address_space:  global
        .offset:         48
        .size:           8
        .value_kind:     global_buffer
      - .offset:         56
        .size:           4
        .value_kind:     by_value
      - .actual_access:  read_only
        .address_space:  global
        .offset:         64
        .size:           8
        .value_kind:     global_buffer
      - .actual_access:  read_only
        .address_space:  global
        .offset:         72
        .size:           8
        .value_kind:     global_buffer
      - .address_space:  global
        .offset:         80
        .size:           8
        .value_kind:     global_buffer
    .group_segment_fixed_size: 0
    .kernarg_segment_align: 8
    .kernarg_segment_size: 88
    .language:       OpenCL C
    .language_version:
      - 2
      - 0
    .max_flat_workgroup_size: 52
    .name:           fft_rtc_fwd_len624_factors_13_4_6_2_wgs_52_tpt_52_half_ip_CI_unitstride_sbrr_R2C_dirReg
    .private_segment_fixed_size: 0
    .sgpr_count:     30
    .sgpr_spill_count: 0
    .symbol:         fft_rtc_fwd_len624_factors_13_4_6_2_wgs_52_tpt_52_half_ip_CI_unitstride_sbrr_R2C_dirReg.kd
    .uniform_work_group_size: 1
    .uses_dynamic_stack: false
    .vgpr_count:     84
    .vgpr_spill_count: 0
    .wavefront_size: 64
amdhsa.target:   amdgcn-amd-amdhsa--gfx906
amdhsa.version:
  - 1
  - 2
...

	.end_amdgpu_metadata
